;; amdgpu-corpus repo=ROCm/AMDMIGraphX kind=compiled arch=gfx1030 opt=O3
	.text
	.amdgcn_target "amdgcn-amd-amdhsa--gfx1030"
	.amdhsa_code_object_version 6
	.protected	math_ops_f32            ; -- Begin function math_ops_f32
	.globl	math_ops_f32
	.p2align	8
	.type	math_ops_f32,@function
math_ops_f32:                           ; @math_ops_f32
; %bb.0:
	s_load_dword s0, s[4:5], 0x1c
	s_waitcnt lgkmcnt(0)
	s_and_b32 s0, s0, 0xffff
	v_mad_u64_u32 v[0:1], null, s6, s0, v[0:1]
	s_mov_b32 s0, exec_lo
	v_cmpx_gt_u32_e32 0x10000, v0
	s_cbranch_execz .LBB0_15
; %bb.1:
	s_load_dwordx4 s[4:7], s[4:5], 0x0
	v_mov_b32_e32 v1, 0
	v_add_nc_u32_e32 v6, 0xffffc000, v0
	s_mov_b32 s3, 0
	v_lshlrev_b64 v[4:5], 2, v[0:1]
	s_waitcnt lgkmcnt(0)
	v_add_co_u32 v2, vcc_lo, s4, v4
	v_add_co_ci_u32_e32 v3, vcc_lo, s5, v5, vcc_lo
	v_add_co_u32 v4, vcc_lo, s6, v4
	v_add_co_ci_u32_e32 v5, vcc_lo, s7, v5, vcc_lo
	s_mov_b32 s4, 0x7fffff
	s_mov_b32 s5, 0xbbbac73d
	s_mov_b32 s6, 0xb94c1982
	s_mov_b32 s7, 0x37d75334
	s_branch .LBB0_3
.LBB0_2:                                ;   in Loop: Header=BB0_3 Depth=1
	s_or_b32 exec_lo, exec_lo, s0
	v_mul_f32_e64 v12, 0x4f800000, |v7|
	v_cmp_gt_f32_e64 vcc_lo, 0xf800000, |v7|
	v_add_f32_e64 v17, |v7|, 1.0
	v_mul_f32_e32 v15, v9, v9
	v_mul_f32_e32 v16, v0, v0
	v_lshlrev_b32_e32 v14, 30, v10
	v_cndmask_b32_e64 v12, |v7|, v12, vcc_lo
	v_cmp_gt_f32_e64 s0, 0x800000, v17
	v_fmaak_f32 v19, s6, v15, 0x3c0881c4
	v_fmaak_f32 v20, s7, v15, 0xbab64f3b
	;; [unrolled: 1-line block ×3, first 2 shown]
	v_sqrt_f32_e32 v18, v12
	v_cndmask_b32_e64 v23, 1.0, 0x4f800000, s0
	v_fmaak_f32 v22, s6, v16, 0x3c0881c4
	v_fmaak_f32 v19, v15, v19, 0xbe2aaa9d
	;; [unrolled: 1-line block ×3, first 2 shown]
	v_and_b32_e32 v10, 1, v10
	v_mul_f32_e32 v17, v17, v23
	v_fmaak_f32 v21, v16, v21, 0x3d2aabf7
	v_fmaak_f32 v22, v16, v22, 0xbe2aaa9d
	v_mul_f32_e32 v19, v15, v19
	v_add_nc_u32_e32 v24, -1, v18
	v_add_nc_u32_e32 v23, 1, v18
	v_fmaak_f32 v20, v15, v20, 0xbf000004
	v_fmaak_f32 v21, v16, v21, 0xbf000004
	v_mul_f32_e32 v22, v16, v22
	v_fma_f32 v25, -v24, v18, v12
	v_fma_f32 v26, -v23, v18, v12
	v_fmac_f32_e32 v9, v9, v19
	v_fma_f32 v15, v15, v20, 1.0
	v_lshlrev_b32_e32 v19, 30, v13
	v_cmp_ge_f32_e64 s1, 0, v25
	v_and_b32_e32 v13, 1, v13
	v_log_f32_e32 v17, v17
	v_fma_f32 v16, v16, v21, 1.0
	v_fmac_f32_e32 v0, v0, v22
	v_cndmask_b32_e64 v18, v18, v24, s1
	v_cmp_lt_f32_e64 s1, 0, v26
	v_xor_b32_e32 v8, v8, v7
	v_and_b32_e32 v14, 0x80000000, v14
	v_add_nc_u32_e32 v6, 0x4000, v6
	v_cndmask_b32_e64 v18, v18, v23, s1
	v_cmp_eq_u32_e64 s1, 0, v10
	v_and_b32_e32 v10, 0x80000000, v19
	v_cndmask_b32_e64 v9, v15, v9, s1
	v_cmp_eq_u32_e64 s1, 0, v13
	v_mul_f32_e32 v13, 0x37800000, v18
	v_mul_f32_e32 v15, 0x3f317217, v17
	v_xor3_b32 v8, v8, v14, v9
	v_cndmask_b32_e64 v0, -v0, v16, s1
	v_cndmask_b32_e32 v9, v18, v13, vcc_lo
	v_cmp_class_f32_e64 vcc_lo, v12, 0x260
	v_xor_b32_e32 v0, v10, v0
	v_fma_f32 v10, 0x3f317217, v17, -v15
	v_mul_f32_e32 v0, v8, v0
	v_cndmask_b32_e32 v8, v9, v12, vcc_lo
	v_fmac_f32_e32 v10, 0x3377d1cf, v17
	v_cmp_class_f32_e64 vcc_lo, v7, 0x1f8
	v_bfi_b32 v7, 0x7fffffff, v11, v7
	v_add_f32_e32 v9, v15, v10
	v_cndmask_b32_e32 v0, 0x7fc00000, v0, vcc_lo
	v_cmp_gt_f32_e64 vcc_lo, 0x7f800000, |v17|
	v_add_f32_e32 v0, v8, v0
	v_cndmask_b32_e32 v8, v17, v9, vcc_lo
	v_cndmask_b32_e64 v9, 0, 0x41b17218, s0
	v_add_co_u32 v2, vcc_lo, 0x10000, v2
	v_add_f32_e32 v0, v0, v7
	v_add_co_ci_u32_e32 v3, vcc_lo, 0, v3, vcc_lo
	v_sub_f32_e32 v7, v8, v9
	v_cmp_lt_u32_e32 vcc_lo, 0xbfff, v6
	v_add_f32_e32 v0, v7, v0
	s_or_b32 s3, vcc_lo, s3
	global_store_dword v[4:5], v0, off
	v_add_co_u32 v4, s0, 0x10000, v4
	v_add_co_ci_u32_e64 v5, s0, 0, v5, s0
	s_andn2_b32 exec_lo, exec_lo, s3
	s_cbranch_execz .LBB0_15
.LBB0_3:                                ; =>This Inner Loop Header: Depth=1
	global_load_dword v7, v[2:3], off
                                        ; implicit-def: $vgpr10
                                        ; implicit-def: $vgpr9
	s_waitcnt vmcnt(0)
	v_and_b32_e32 v8, 0x7fffffff, v7
	v_cmp_ngt_f32_e64 s8, 0x48000000, |v7|
	v_lshrrev_b32_e32 v0, 23, v8
	v_and_or_b32 v11, v8, s4, 0x800000
	v_add_nc_u32_e32 v12, 0xffffff88, v0
	s_and_saveexec_b32 s0, s8
	s_xor_b32 s9, exec_lo, s0
	s_cbranch_execz .LBB0_5
; %bb.4:                                ;   in Loop: Header=BB0_3 Depth=1
	v_mad_u64_u32 v[9:10], null, 0xfe5163ab, v11, 0
	v_cmp_lt_u32_e32 vcc_lo, 63, v12
	v_mov_b32_e32 v0, v10
	v_cndmask_b32_e64 v10, 0, 0xffffffc0, vcc_lo
	v_mad_u64_u32 v[13:14], null, 0x3c439041, v11, v[0:1]
	v_add_nc_u32_e32 v10, v10, v12
	v_cmp_lt_u32_e64 s0, 31, v10
	v_mov_b32_e32 v0, v14
	v_cndmask_b32_e64 v19, 0, 0xffffffe0, s0
	v_mad_u64_u32 v[14:15], null, 0xdb629599, v11, v[0:1]
	v_add_nc_u32_e32 v10, v19, v10
	v_mov_b32_e32 v0, v15
	v_cmp_lt_u32_e64 s1, 31, v10
	v_cndmask_b32_e32 v9, v14, v9, vcc_lo
	v_mad_u64_u32 v[15:16], null, 0xf534ddc0, v11, v[0:1]
	v_mov_b32_e32 v0, v16
	v_mad_u64_u32 v[16:17], null, 0xfc2757d1, v11, v[0:1]
	v_mov_b32_e32 v0, v17
	;; [unrolled: 2-line block ×3, first 2 shown]
	v_cndmask_b32_e32 v20, v17, v15, vcc_lo
	v_mad_u64_u32 v[18:19], null, 0xa2f9836e, v11, v[0:1]
	v_cndmask_b32_e64 v0, 0, 0xffffffe0, s1
	v_add_nc_u32_e32 v0, v0, v10
	v_cndmask_b32_e32 v18, v18, v16, vcc_lo
	v_cndmask_b32_e32 v17, v19, v17, vcc_lo
	;; [unrolled: 1-line block ×4, first 2 shown]
	v_cmp_eq_u32_e64 s2, 0, v0
	v_cndmask_b32_e64 v13, v18, v20, s0
	v_cndmask_b32_e64 v15, v17, v18, s0
	;; [unrolled: 1-line block ×3, first 2 shown]
	v_sub_nc_u32_e32 v18, 32, v0
	v_cndmask_b32_e64 v16, v16, v10, s0
	v_cndmask_b32_e64 v9, v10, v9, s0
	;; [unrolled: 1-line block ×6, first 2 shown]
	v_alignbit_b32 v19, v15, v13, v18
	v_alignbit_b32 v20, v13, v17, v18
	v_alignbit_b32 v18, v17, v9, v18
	v_cndmask_b32_e64 v0, v19, v15, s2
	v_cndmask_b32_e64 v13, v20, v13, s2
	;; [unrolled: 1-line block ×3, first 2 shown]
	v_bfe_u32 v14, v0, 29, 1
	v_alignbit_b32 v10, v0, v13, 30
	v_alignbit_b32 v13, v13, v17, 30
	;; [unrolled: 1-line block ×3, first 2 shown]
	v_sub_nc_u32_e32 v15, 0, v14
	v_xor_b32_e32 v16, v10, v15
	v_cmp_ne_u32_e32 vcc_lo, v10, v15
	v_xor_b32_e32 v13, v13, v15
	v_xor_b32_e32 v9, v9, v15
	v_ffbh_u32_e32 v19, v16
	v_add_nc_u32_e32 v18, 1, v19
	v_cndmask_b32_e32 v10, 33, v18, vcc_lo
	v_sub_nc_u32_e32 v17, 32, v10
	v_alignbit_b32 v15, v16, v13, v17
	v_alignbit_b32 v9, v13, v9, v17
	v_lshrrev_b32_e32 v13, 29, v0
	v_lshrrev_b32_e32 v0, 30, v0
	v_alignbit_b32 v16, v15, v9, 9
	v_lshlrev_b32_e32 v13, 31, v13
	v_alignbit_b32 v15, v10, v15, 9
	v_ffbh_u32_e32 v17, v16
	v_or_b32_e32 v15, v15, v13
	v_or_b32_e32 v13, 0x33800000, v13
	v_min_u32_e32 v17, 32, v17
	v_xor_b32_e32 v15, 1.0, v15
	v_sub_nc_u32_e32 v18, 31, v17
	v_add_lshl_u32 v10, v17, v10, 23
	v_mul_f32_e32 v17, 0x3fc90fda, v15
	v_alignbit_b32 v9, v16, v9, v18
	v_sub_nc_u32_e32 v10, v13, v10
	v_fma_f32 v13, 0x3fc90fda, v15, -v17
	v_lshrrev_b32_e32 v9, 9, v9
	v_fmac_f32_e32 v13, 0x33a22168, v15
	v_or_b32_e32 v9, v10, v9
	v_add_nc_u32_e32 v10, v14, v0
	v_fmac_f32_e32 v13, 0x3fc90fda, v9
	v_add_f32_e32 v9, v17, v13
.LBB0_5:                                ;   in Loop: Header=BB0_3 Depth=1
	s_or_saveexec_b32 s0, s9
	v_mul_f32_e64 v0, 0x3f22f983, |v7|
	v_rndne_f32_e32 v14, v0
	s_xor_b32 exec_lo, exec_lo, s0
; %bb.6:                                ;   in Loop: Header=BB0_3 Depth=1
	v_fma_f32 v9, 0xbfc90fda, v14, |v7|
	v_cvt_i32_f32_e32 v10, v14
	v_fmac_f32_e32 v9, 0xb3a22168, v14
	v_fmac_f32_e32 v9, 0xa7c234c4, v14
; %bb.7:                                ;   in Loop: Header=BB0_3 Depth=1
	s_or_b32 exec_lo, exec_lo, s0
                                        ; implicit-def: $vgpr13
                                        ; implicit-def: $vgpr0
	s_and_saveexec_b32 s0, s8
	s_xor_b32 s8, exec_lo, s0
	s_cbranch_execz .LBB0_9
; %bb.8:                                ;   in Loop: Header=BB0_3 Depth=1
	v_mad_u64_u32 v[13:14], null, 0xfe5163ab, v11, 0
	v_cmp_lt_u32_e32 vcc_lo, 63, v12
	v_cndmask_b32_e64 v19, 0, 0xffffffc0, vcc_lo
	v_mov_b32_e32 v0, v14
	v_add_nc_u32_e32 v12, v19, v12
	v_mad_u64_u32 v[14:15], null, 0x3c439041, v11, v[0:1]
	v_cmp_lt_u32_e64 s0, 31, v12
	v_mov_b32_e32 v0, v15
	v_cndmask_b32_e64 v20, 0, 0xffffffe0, s0
	v_mad_u64_u32 v[15:16], null, 0xdb629599, v11, v[0:1]
	v_mov_b32_e32 v0, v16
	v_mad_u64_u32 v[16:17], null, 0xf534ddc0, v11, v[0:1]
	v_mov_b32_e32 v0, v17
	v_cndmask_b32_e32 v14, v16, v14, vcc_lo
	v_mad_u64_u32 v[17:18], null, 0xfc2757d1, v11, v[0:1]
	v_mov_b32_e32 v0, v18
	v_mad_u64_u32 v[18:19], null, 0x4e441529, v11, v[0:1]
	v_mov_b32_e32 v0, v19
	v_add_nc_u32_e32 v19, v20, v12
	v_cndmask_b32_e32 v20, v18, v16, vcc_lo
	v_mad_u64_u32 v[11:12], null, 0xa2f9836e, v11, v[0:1]
	v_cmp_lt_u32_e64 s1, 31, v19
	v_cndmask_b32_e64 v0, 0, 0xffffffe0, s1
	v_cndmask_b32_e32 v11, v11, v17, vcc_lo
	v_cndmask_b32_e32 v12, v12, v18, vcc_lo
	;; [unrolled: 1-line block ×3, first 2 shown]
	v_add_nc_u32_e32 v0, v0, v19
	v_cndmask_b32_e64 v16, v11, v20, s0
	v_cndmask_b32_e64 v11, v12, v11, s0
	v_cndmask_b32_e64 v12, v20, v17, s0
	v_cndmask_b32_e64 v17, v17, v14, s0
	v_sub_nc_u32_e32 v18, 32, v0
	v_cmp_eq_u32_e64 s2, 0, v0
	v_cndmask_b32_e64 v11, v11, v16, s1
	v_cndmask_b32_e64 v16, v16, v12, s1
	;; [unrolled: 1-line block ×3, first 2 shown]
	v_alignbit_b32 v19, v11, v16, v18
	v_alignbit_b32 v20, v16, v12, v18
	v_cndmask_b32_e64 v0, v19, v11, s2
	v_cndmask_b32_e32 v11, v15, v13, vcc_lo
	v_cndmask_b32_e64 v13, v20, v16, s2
	v_bfe_u32 v15, v0, 29, 1
	v_cndmask_b32_e64 v11, v14, v11, s0
	v_alignbit_b32 v14, v0, v13, 30
	v_sub_nc_u32_e32 v16, 0, v15
	v_cndmask_b32_e64 v11, v17, v11, s1
	v_xor_b32_e32 v17, v14, v16
	v_alignbit_b32 v18, v12, v11, v18
	v_cmp_ne_u32_e32 vcc_lo, v14, v16
	v_ffbh_u32_e32 v19, v17
	v_cndmask_b32_e64 v12, v18, v12, s2
	v_add_nc_u32_e32 v18, 1, v19
	v_alignbit_b32 v13, v13, v12, 30
	v_alignbit_b32 v11, v12, v11, 30
	v_cndmask_b32_e32 v14, 33, v18, vcc_lo
	v_xor_b32_e32 v12, v13, v16
	v_xor_b32_e32 v11, v11, v16
	v_sub_nc_u32_e32 v13, 32, v14
	v_alignbit_b32 v16, v17, v12, v13
	v_alignbit_b32 v11, v12, v11, v13
	v_lshrrev_b32_e32 v12, 29, v0
	v_alignbit_b32 v13, v16, v11, 9
	v_lshlrev_b32_e32 v12, 31, v12
	v_alignbit_b32 v16, v14, v16, 9
	v_ffbh_u32_e32 v17, v13
	v_or_b32_e32 v16, v16, v12
	v_or_b32_e32 v12, 0x33800000, v12
	v_min_u32_e32 v17, 32, v17
	v_xor_b32_e32 v16, 1.0, v16
	v_sub_nc_u32_e32 v18, 31, v17
	v_add_lshl_u32 v14, v17, v14, 23
	v_mul_f32_e32 v17, 0x3fc90fda, v16
	v_alignbit_b32 v11, v13, v11, v18
	v_sub_nc_u32_e32 v12, v12, v14
	v_fma_f32 v13, 0x3fc90fda, v16, -v17
                                        ; implicit-def: $vgpr14
	v_lshrrev_b32_e32 v11, 9, v11
	v_fmac_f32_e32 v13, 0x33a22168, v16
	v_or_b32_e32 v11, v12, v11
	v_fmac_f32_e32 v13, 0x3fc90fda, v11
	v_lshrrev_b32_e32 v11, 30, v0
	v_add_f32_e32 v0, v17, v13
	v_add_nc_u32_e32 v13, v15, v11
	s_andn2_saveexec_b32 s0, s8
	s_cbranch_execnz .LBB0_10
	s_branch .LBB0_11
.LBB0_9:                                ;   in Loop: Header=BB0_3 Depth=1
	s_andn2_saveexec_b32 s0, s8
.LBB0_10:                               ;   in Loop: Header=BB0_3 Depth=1
	v_fma_f32 v0, 0xbfc90fda, v14, |v7|
	v_cvt_i32_f32_e32 v13, v14
	v_fmac_f32_e32 v0, 0xb3a22168, v14
	v_fmac_f32_e32 v0, 0xa7c234c4, v14
.LBB0_11:                               ;   in Loop: Header=BB0_3 Depth=1
	s_or_b32 exec_lo, exec_lo, s0
	v_cmp_ngt_f32_e64 s0, 0x3f200000, |v7|
                                        ; implicit-def: $vgpr11
	s_and_saveexec_b32 s1, s0
	s_xor_b32 s0, exec_lo, s1
	s_cbranch_execz .LBB0_13
; %bb.12:                               ;   in Loop: Header=BB0_3 Depth=1
	v_add_f32_e64 v11, |v7|, |v7|
	v_mul_f32_e32 v12, 0x3fb8aa3b, v11
	v_cmp_ngt_f32_e32 vcc_lo, 0xc2ce8ed0, v11
	v_rndne_f32_e32 v14, v12
	v_fma_f32 v15, 0x3fb8aa3b, v11, -v12
	v_sub_f32_e32 v12, v12, v14
	v_fmac_f32_e32 v15, 0x32a5705f, v11
	v_cvt_i32_f32_e32 v14, v14
	v_add_f32_e32 v12, v12, v15
	v_exp_f32_e32 v12, v12
	v_ldexp_f32 v12, v12, v14
	v_cndmask_b32_e32 v12, 0, v12, vcc_lo
	v_cmp_nlt_f32_e32 vcc_lo, 0x42b17218, v11
	v_cndmask_b32_e32 v11, 0x7f800000, v12, vcc_lo
	v_add_f32_e32 v11, 1.0, v11
	v_rcp_f32_e32 v11, v11
	v_fma_f32 v11, v11, -2.0, 1.0
.LBB0_13:                               ;   in Loop: Header=BB0_3 Depth=1
	s_andn2_saveexec_b32 s0, s0
	s_cbranch_execz .LBB0_2
; %bb.14:                               ;   in Loop: Header=BB0_3 Depth=1
	v_mul_f32_e32 v11, v7, v7
	v_fmaak_f32 v12, s5, v11, 0x3ca908c9
	v_fmaak_f32 v12, v11, v12, 0xbd5c1c4e
	;; [unrolled: 1-line block ×4, first 2 shown]
	v_mul_f32_e64 v12, |v7|, v12
	v_fma_f32 v11, v11, v12, |v7|
	s_branch .LBB0_2
.LBB0_15:
	s_endpgm
	.section	.rodata,"a",@progbits
	.p2align	6, 0x0
	.amdhsa_kernel math_ops_f32
		.amdhsa_group_segment_fixed_size 0
		.amdhsa_private_segment_fixed_size 0
		.amdhsa_kernarg_size 272
		.amdhsa_user_sgpr_count 6
		.amdhsa_user_sgpr_private_segment_buffer 1
		.amdhsa_user_sgpr_dispatch_ptr 0
		.amdhsa_user_sgpr_queue_ptr 0
		.amdhsa_user_sgpr_kernarg_segment_ptr 1
		.amdhsa_user_sgpr_dispatch_id 0
		.amdhsa_user_sgpr_flat_scratch_init 0
		.amdhsa_user_sgpr_private_segment_size 0
		.amdhsa_wavefront_size32 1
		.amdhsa_uses_dynamic_stack 0
		.amdhsa_system_sgpr_private_segment_wavefront_offset 0
		.amdhsa_system_sgpr_workgroup_id_x 1
		.amdhsa_system_sgpr_workgroup_id_y 0
		.amdhsa_system_sgpr_workgroup_id_z 0
		.amdhsa_system_sgpr_workgroup_info 0
		.amdhsa_system_vgpr_workitem_id 0
		.amdhsa_next_free_vgpr 27
		.amdhsa_next_free_sgpr 10
		.amdhsa_reserve_vcc 1
		.amdhsa_reserve_flat_scratch 0
		.amdhsa_float_round_mode_32 0
		.amdhsa_float_round_mode_16_64 0
		.amdhsa_float_denorm_mode_32 3
		.amdhsa_float_denorm_mode_16_64 3
		.amdhsa_dx10_clamp 1
		.amdhsa_ieee_mode 1
		.amdhsa_fp16_overflow 0
		.amdhsa_workgroup_processor_mode 1
		.amdhsa_memory_ordered 1
		.amdhsa_forward_progress 0
		.amdhsa_shared_vgpr_count 0
		.amdhsa_exception_fp_ieee_invalid_op 0
		.amdhsa_exception_fp_denorm_src 0
		.amdhsa_exception_fp_ieee_div_zero 0
		.amdhsa_exception_fp_ieee_overflow 0
		.amdhsa_exception_fp_ieee_underflow 0
		.amdhsa_exception_fp_ieee_inexact 0
		.amdhsa_exception_int_div_zero 0
	.end_amdhsa_kernel
	.text
.Lfunc_end0:
	.size	math_ops_f32, .Lfunc_end0-math_ops_f32
                                        ; -- End function
	.section	.AMDGPU.csdata,"",@progbits
; Kernel info:
; codeLenInByte = 2168
; NumSgprs: 12
; NumVgprs: 27
; ScratchSize: 0
; MemoryBound: 0
; FloatMode: 240
; IeeeMode: 1
; LDSByteSize: 0 bytes/workgroup (compile time only)
; SGPRBlocks: 1
; VGPRBlocks: 3
; NumSGPRsForWavesPerEU: 12
; NumVGPRsForWavesPerEU: 27
; Occupancy: 16
; WaveLimiterHint : 0
; COMPUTE_PGM_RSRC2:SCRATCH_EN: 0
; COMPUTE_PGM_RSRC2:USER_SGPR: 6
; COMPUTE_PGM_RSRC2:TRAP_HANDLER: 0
; COMPUTE_PGM_RSRC2:TGID_X_EN: 1
; COMPUTE_PGM_RSRC2:TGID_Y_EN: 0
; COMPUTE_PGM_RSRC2:TGID_Z_EN: 0
; COMPUTE_PGM_RSRC2:TIDIG_COMP_CNT: 0
	.text
	.protected	math_ops_f16            ; -- Begin function math_ops_f16
	.globl	math_ops_f16
	.p2align	8
	.type	math_ops_f16,@function
math_ops_f16:                           ; @math_ops_f16
; %bb.0:
	s_load_dword s0, s[4:5], 0x1c
	s_waitcnt lgkmcnt(0)
	s_and_b32 s0, s0, 0xffff
	v_mad_u64_u32 v[0:1], null, s6, s0, v[0:1]
	s_mov_b32 s0, exec_lo
	v_cmpx_gt_u32_e32 0x10000, v0
	s_cbranch_execz .LBB1_3
; %bb.1:
	s_load_dwordx4 s[0:3], s[4:5], 0x0
	v_mov_b32_e32 v1, 0
	v_add_nc_u32_e32 v4, 0xffffc000, v0
	v_lshlrev_b64 v[2:3], 1, v[0:1]
	s_waitcnt lgkmcnt(0)
	v_add_co_u32 v0, vcc_lo, s0, v2
	v_add_co_ci_u32_e32 v1, vcc_lo, s1, v3, vcc_lo
	v_add_co_u32 v2, vcc_lo, s2, v2
	v_add_co_ci_u32_e32 v3, vcc_lo, s3, v3, vcc_lo
	s_mov_b32 s1, 0
	.p2align	6
.LBB1_2:                                ; =>This Inner Loop Header: Depth=1
	global_load_ushort v5, v[0:1], off
	v_add_nc_u32_e32 v4, 0x4000, v4
	v_add_co_u32 v0, vcc_lo, 0x8000, v0
	v_add_co_ci_u32_e32 v1, vcc_lo, 0, v1, vcc_lo
	v_cmp_lt_u32_e32 vcc_lo, 0xbfff, v4
	s_or_b32 s1, vcc_lo, s1
	s_waitcnt vmcnt(0)
	v_cvt_f32_f16_e32 v6, v5
	v_add_f16_e64 v5, |v5|, 1.0
	v_mul_f32_e32 v6, 0x3fb8aa3b, v6
	v_rsq_f16_e32 v5, v5
	v_exp_f32_e32 v6, v6
	v_cvt_f16_f32_e32 v6, v6
	v_add_f16_e32 v5, v5, v6
	global_store_short v[2:3], v5, off
	v_add_co_u32 v2, s0, 0x8000, v2
	v_add_co_ci_u32_e64 v3, s0, 0, v3, s0
	s_andn2_b32 exec_lo, exec_lo, s1
	s_cbranch_execnz .LBB1_2
.LBB1_3:
	s_endpgm
	.section	.rodata,"a",@progbits
	.p2align	6, 0x0
	.amdhsa_kernel math_ops_f16
		.amdhsa_group_segment_fixed_size 0
		.amdhsa_private_segment_fixed_size 0
		.amdhsa_kernarg_size 272
		.amdhsa_user_sgpr_count 6
		.amdhsa_user_sgpr_private_segment_buffer 1
		.amdhsa_user_sgpr_dispatch_ptr 0
		.amdhsa_user_sgpr_queue_ptr 0
		.amdhsa_user_sgpr_kernarg_segment_ptr 1
		.amdhsa_user_sgpr_dispatch_id 0
		.amdhsa_user_sgpr_flat_scratch_init 0
		.amdhsa_user_sgpr_private_segment_size 0
		.amdhsa_wavefront_size32 1
		.amdhsa_uses_dynamic_stack 0
		.amdhsa_system_sgpr_private_segment_wavefront_offset 0
		.amdhsa_system_sgpr_workgroup_id_x 1
		.amdhsa_system_sgpr_workgroup_id_y 0
		.amdhsa_system_sgpr_workgroup_id_z 0
		.amdhsa_system_sgpr_workgroup_info 0
		.amdhsa_system_vgpr_workitem_id 0
		.amdhsa_next_free_vgpr 7
		.amdhsa_next_free_sgpr 7
		.amdhsa_reserve_vcc 1
		.amdhsa_reserve_flat_scratch 0
		.amdhsa_float_round_mode_32 0
		.amdhsa_float_round_mode_16_64 0
		.amdhsa_float_denorm_mode_32 3
		.amdhsa_float_denorm_mode_16_64 3
		.amdhsa_dx10_clamp 1
		.amdhsa_ieee_mode 1
		.amdhsa_fp16_overflow 0
		.amdhsa_workgroup_processor_mode 1
		.amdhsa_memory_ordered 1
		.amdhsa_forward_progress 0
		.amdhsa_shared_vgpr_count 0
		.amdhsa_exception_fp_ieee_invalid_op 0
		.amdhsa_exception_fp_denorm_src 0
		.amdhsa_exception_fp_ieee_div_zero 0
		.amdhsa_exception_fp_ieee_overflow 0
		.amdhsa_exception_fp_ieee_underflow 0
		.amdhsa_exception_fp_ieee_inexact 0
		.amdhsa_exception_int_div_zero 0
	.end_amdhsa_kernel
	.text
.Lfunc_end1:
	.size	math_ops_f16, .Lfunc_end1-math_ops_f16
                                        ; -- End function
	.section	.AMDGPU.csdata,"",@progbits
; Kernel info:
; codeLenInByte = 228
; NumSgprs: 9
; NumVgprs: 7
; ScratchSize: 0
; MemoryBound: 0
; FloatMode: 240
; IeeeMode: 1
; LDSByteSize: 0 bytes/workgroup (compile time only)
; SGPRBlocks: 1
; VGPRBlocks: 0
; NumSGPRsForWavesPerEU: 9
; NumVGPRsForWavesPerEU: 7
; Occupancy: 16
; WaveLimiterHint : 0
; COMPUTE_PGM_RSRC2:SCRATCH_EN: 0
; COMPUTE_PGM_RSRC2:USER_SGPR: 6
; COMPUTE_PGM_RSRC2:TRAP_HANDLER: 0
; COMPUTE_PGM_RSRC2:TGID_X_EN: 1
; COMPUTE_PGM_RSRC2:TGID_Y_EN: 0
; COMPUTE_PGM_RSRC2:TGID_Z_EN: 0
; COMPUTE_PGM_RSRC2:TIDIG_COMP_CNT: 0
	.text
	.p2alignl 6, 3214868480
	.fill 48, 4, 3214868480
	.type	__hip_cuid_722629f91a46f2ec,@object ; @__hip_cuid_722629f91a46f2ec
	.section	.bss,"aw",@nobits
	.globl	__hip_cuid_722629f91a46f2ec
__hip_cuid_722629f91a46f2ec:
	.byte	0                               ; 0x0
	.size	__hip_cuid_722629f91a46f2ec, 1

	.ident	"AMD clang version 19.0.0git (https://github.com/RadeonOpenCompute/llvm-project roc-6.4.0 25133 c7fe45cf4b819c5991fe208aaa96edf142730f1d)"
	.section	".note.GNU-stack","",@progbits
	.addrsig
	.addrsig_sym __hip_cuid_722629f91a46f2ec
	.amdgpu_metadata
---
amdhsa.kernels:
  - .args:
      - .address_space:  global
        .offset:         0
        .size:           8
        .value_kind:     global_buffer
      - .address_space:  global
        .offset:         8
        .size:           8
        .value_kind:     global_buffer
      - .offset:         16
        .size:           4
        .value_kind:     hidden_block_count_x
      - .offset:         20
        .size:           4
        .value_kind:     hidden_block_count_y
      - .offset:         24
        .size:           4
        .value_kind:     hidden_block_count_z
      - .offset:         28
        .size:           2
        .value_kind:     hidden_group_size_x
      - .offset:         30
        .size:           2
        .value_kind:     hidden_group_size_y
      - .offset:         32
        .size:           2
        .value_kind:     hidden_group_size_z
      - .offset:         34
        .size:           2
        .value_kind:     hidden_remainder_x
      - .offset:         36
        .size:           2
        .value_kind:     hidden_remainder_y
      - .offset:         38
        .size:           2
        .value_kind:     hidden_remainder_z
      - .offset:         56
        .size:           8
        .value_kind:     hidden_global_offset_x
      - .offset:         64
        .size:           8
        .value_kind:     hidden_global_offset_y
      - .offset:         72
        .size:           8
        .value_kind:     hidden_global_offset_z
      - .offset:         80
        .size:           2
        .value_kind:     hidden_grid_dims
    .group_segment_fixed_size: 0
    .kernarg_segment_align: 8
    .kernarg_segment_size: 272
    .language:       OpenCL C
    .language_version:
      - 2
      - 0
    .max_flat_workgroup_size: 1024
    .name:           math_ops_f32
    .private_segment_fixed_size: 0
    .sgpr_count:     12
    .sgpr_spill_count: 0
    .symbol:         math_ops_f32.kd
    .uniform_work_group_size: 1
    .uses_dynamic_stack: false
    .vgpr_count:     27
    .vgpr_spill_count: 0
    .wavefront_size: 32
    .workgroup_processor_mode: 1
  - .args:
      - .address_space:  global
        .offset:         0
        .size:           8
        .value_kind:     global_buffer
      - .address_space:  global
        .offset:         8
        .size:           8
        .value_kind:     global_buffer
      - .offset:         16
        .size:           4
        .value_kind:     hidden_block_count_x
      - .offset:         20
        .size:           4
        .value_kind:     hidden_block_count_y
      - .offset:         24
        .size:           4
        .value_kind:     hidden_block_count_z
      - .offset:         28
        .size:           2
        .value_kind:     hidden_group_size_x
      - .offset:         30
        .size:           2
        .value_kind:     hidden_group_size_y
      - .offset:         32
        .size:           2
        .value_kind:     hidden_group_size_z
      - .offset:         34
        .size:           2
        .value_kind:     hidden_remainder_x
      - .offset:         36
        .size:           2
        .value_kind:     hidden_remainder_y
      - .offset:         38
        .size:           2
        .value_kind:     hidden_remainder_z
      - .offset:         56
        .size:           8
        .value_kind:     hidden_global_offset_x
      - .offset:         64
        .size:           8
        .value_kind:     hidden_global_offset_y
      - .offset:         72
        .size:           8
        .value_kind:     hidden_global_offset_z
      - .offset:         80
        .size:           2
        .value_kind:     hidden_grid_dims
    .group_segment_fixed_size: 0
    .kernarg_segment_align: 8
    .kernarg_segment_size: 272
    .language:       OpenCL C
    .language_version:
      - 2
      - 0
    .max_flat_workgroup_size: 1024
    .name:           math_ops_f16
    .private_segment_fixed_size: 0
    .sgpr_count:     9
    .sgpr_spill_count: 0
    .symbol:         math_ops_f16.kd
    .uniform_work_group_size: 1
    .uses_dynamic_stack: false
    .vgpr_count:     7
    .vgpr_spill_count: 0
    .wavefront_size: 32
    .workgroup_processor_mode: 1
amdhsa.target:   amdgcn-amd-amdhsa--gfx1030
amdhsa.version:
  - 1
  - 2
...

	.end_amdgpu_metadata
